;; amdgpu-corpus repo=tuanlda78202/gpt-oss-amd kind=compiled arch=gfx90a opt=O3
	.text
	.amdgcn_target "amdgcn-amd-amdhsa--gfx90a"
	.amdhsa_code_object_version 6
	.protected	_Z20gemm_bf16_f32_mfma_oPK14__hip_bfloat16PKfPfS1_iii ; -- Begin function _Z20gemm_bf16_f32_mfma_oPK14__hip_bfloat16PKfPfS1_iii
	.globl	_Z20gemm_bf16_f32_mfma_oPK14__hip_bfloat16PKfPfS1_iii
	.p2align	8
	.type	_Z20gemm_bf16_f32_mfma_oPK14__hip_bfloat16PKfPfS1_iii,@function
_Z20gemm_bf16_f32_mfma_oPK14__hip_bfloat16PKfPfS1_iii: ; @_Z20gemm_bf16_f32_mfma_oPK14__hip_bfloat16PKfPfS1_iii
; %bb.0:
	s_load_dwordx2 s[8:9], s[4:5], 0x18
	s_load_dwordx4 s[16:19], s[4:5], 0x20
	v_lshrrev_b32_e32 v2, 2, v0
	s_lshl_b32 s28, s7, 8
	v_and_b32_e32 v1, 0xf0, v2
	s_mov_b32 s0, 0
	v_or_b32_e32 v10, s28, v1
	v_and_b32_e32 v38, 12, v2
	s_mov_b32 s2, s0
	s_mov_b32 s3, s0
	v_or_b32_e32 v24, v10, v38
	s_mov_b32 s1, s0
	v_pk_mov_b32 v[4:5], s[2:3], s[2:3] op_sel:[0,1]
	s_waitcnt lgkmcnt(0)
	v_cmp_gt_i32_e64 s[12:13], s16, v24
	v_pk_mov_b32 v[2:3], s[0:1], s[0:1] op_sel:[0,1]
	s_and_saveexec_b64 s[0:1], s[12:13]
	s_cbranch_execz .LBB0_2
; %bb.1:
	v_ashrrev_i32_e32 v25, 31, v24
	v_lshlrev_b64 v[2:3], 1, v[24:25]
	v_mov_b32_e32 v4, s9
	v_add_co_u32_e32 v2, vcc, s8, v2
	v_addc_co_u32_e32 v3, vcc, v4, v3, vcc
	global_load_ushort v2, v[2:3], off
	v_mov_b32_e32 v3, 0
	v_mov_b32_e32 v4, v3
	v_mov_b32_e32 v5, v3
	s_waitcnt vmcnt(0)
	v_lshlrev_b32_e32 v2, 16, v2
.LBB0_2:
	s_or_b64 exec, exec, s[0:1]
	v_or_b32_e32 v6, 1, v24
	v_cmp_gt_i32_e64 s[2:3], s16, v6
	s_and_saveexec_b64 s[0:1], s[2:3]
	s_cbranch_execz .LBB0_4
; %bb.3:
	v_ashrrev_i32_e32 v25, 31, v24
	v_lshlrev_b64 v[6:7], 1, v[24:25]
	v_mov_b32_e32 v3, s9
	v_add_co_u32_e32 v6, vcc, s8, v6
	v_addc_co_u32_e32 v7, vcc, v3, v7, vcc
	global_load_ushort v3, v[6:7], off offset:2
	s_waitcnt vmcnt(0)
	v_lshlrev_b32_e32 v3, 16, v3
.LBB0_4:
	s_or_b64 exec, exec, s[0:1]
	v_or_b32_e32 v6, 2, v24
	v_cmp_gt_i32_e64 s[0:1], s16, v6
	s_and_saveexec_b64 s[10:11], s[0:1]
	s_cbranch_execz .LBB0_6
; %bb.5:
	v_ashrrev_i32_e32 v25, 31, v24
	v_lshlrev_b64 v[6:7], 1, v[24:25]
	v_mov_b32_e32 v4, s9
	v_add_co_u32_e32 v6, vcc, s8, v6
	v_addc_co_u32_e32 v7, vcc, v4, v7, vcc
	global_load_ushort v4, v[6:7], off offset:4
	s_waitcnt vmcnt(0)
	v_lshlrev_b32_e32 v4, 16, v4
.LBB0_6:
	s_or_b64 exec, exec, s[10:11]
	s_load_dwordx2 s[10:11], s[4:5], 0x8
	v_or_b32_e32 v6, 3, v24
	v_cmp_le_i32_e64 s[14:15], s16, v6
	v_cmp_gt_i32_e32 vcc, s16, v6
	s_and_saveexec_b64 s[20:21], vcc
	s_cbranch_execz .LBB0_8
; %bb.7:
	v_ashrrev_i32_e32 v25, 31, v24
	v_lshlrev_b64 v[6:7], 1, v[24:25]
	v_mov_b32_e32 v5, s9
	v_add_co_u32_e32 v6, vcc, s8, v6
	v_addc_co_u32_e32 v7, vcc, v5, v7, vcc
	global_load_ushort v5, v[6:7], off offset:6
	s_waitcnt vmcnt(0)
	v_lshlrev_b32_e32 v5, 16, v5
.LBB0_8:
	s_or_b64 exec, exec, s[20:21]
	s_load_dwordx2 s[22:23], s[4:5], 0x0
	s_load_dwordx2 s[20:21], s[4:5], 0x10
	s_lshl_b32 s19, s6, 6
	v_lshrrev_b32_e32 v15, 4, v0
	v_lshlrev_b32_e32 v6, 2, v0
	v_and_b32_e32 v11, 60, v6
	v_or_b32_e32 v13, s19, v15
	v_cmp_gt_i32_e64 s[8:9], s17, v13
	v_cmp_gt_i32_e32 vcc, s18, v11
	s_and_b64 s[4:5], s[8:9], vcc
	v_mov_b32_e32 v7, 0
	v_ashrrev_i32_e32 v14, 31, v13
	v_lshlrev_b32_e32 v12, 2, v11
	v_mov_b32_e32 v6, 0
	s_and_saveexec_b64 s[6:7], s[4:5]
	s_xor_b64 s[4:5], exec, s[6:7]
	s_cbranch_execz .LBB0_26
; %bb.9:
	v_mad_u64_u32 v[6:7], s[6:7], s18, v13, 0
	v_mov_b32_e32 v8, v7
	v_mad_u64_u32 v[8:9], s[6:7], s18, v14, v[8:9]
	v_mov_b32_e32 v7, v8
	v_lshlrev_b64 v[6:7], 2, v[6:7]
	s_waitcnt lgkmcnt(0)
	v_mov_b32_e32 v8, s11
	v_add_co_u32_e32 v6, vcc, s10, v6
	v_addc_co_u32_e32 v7, vcc, v8, v7, vcc
	v_add_co_u32_e32 v6, vcc, v6, v12
	v_addc_co_u32_e32 v7, vcc, 0, v7, vcc
	global_load_dwordx4 v[6:9], v[6:7], off
	s_mov_b32 s6, 0x7f800000
	s_waitcnt vmcnt(0)
	v_and_b32_e32 v16, 0x7f800000, v6
	v_cmp_ne_u32_e32 vcc, s6, v16
                                        ; implicit-def: $vgpr16
	s_and_saveexec_b64 s[6:7], vcc
	s_xor_b64 s[6:7], exec, s[6:7]
; %bb.10:
	v_bfe_u32 v16, v6, 16, 1
	s_movk_i32 s24, 0x7fff
	v_add3_u32 v16, v6, v16, s24
; %bb.11:
	s_andn2_saveexec_b64 s[6:7], s[6:7]
; %bb.12:
	v_mov_b32_e32 v16, 0
	v_or_b32_e32 v17, 0x10000, v6
	v_cmp_eq_u32_sdwa vcc, v6, v16 src0_sel:WORD_0 src1_sel:DWORD
	v_cndmask_b32_e32 v16, v17, v6, vcc
; %bb.13:
	s_or_b64 exec, exec, s[6:7]
	s_mov_b32 s6, 0x7f800000
	v_and_b32_e32 v6, 0x7f800000, v7
	v_cmp_ne_u32_e32 vcc, s6, v6
                                        ; implicit-def: $vgpr17
	s_and_saveexec_b64 s[6:7], vcc
	s_xor_b64 s[6:7], exec, s[6:7]
; %bb.14:
	v_bfe_u32 v6, v7, 16, 1
	s_movk_i32 s24, 0x7fff
	v_add3_u32 v17, v7, v6, s24
; %bb.15:
	s_andn2_saveexec_b64 s[6:7], s[6:7]
; %bb.16:
	v_mov_b32_e32 v6, 0
	v_or_b32_e32 v17, 0x10000, v7
	v_cmp_eq_u32_sdwa vcc, v7, v6 src0_sel:WORD_0 src1_sel:DWORD
	v_cndmask_b32_e32 v17, v17, v7, vcc
; %bb.17:
	s_or_b64 exec, exec, s[6:7]
	s_mov_b32 s6, 0x7f800000
	v_and_b32_e32 v6, 0x7f800000, v8
	v_cmp_ne_u32_e32 vcc, s6, v6
                                        ; implicit-def: $vgpr18
	s_and_saveexec_b64 s[6:7], vcc
	s_xor_b64 s[6:7], exec, s[6:7]
; %bb.18:
	v_bfe_u32 v6, v8, 16, 1
	s_movk_i32 s24, 0x7fff
	v_add3_u32 v18, v8, v6, s24
; %bb.19:
	s_andn2_saveexec_b64 s[6:7], s[6:7]
; %bb.20:
	v_mov_b32_e32 v6, 0
	v_or_b32_e32 v7, 0x10000, v8
	v_cmp_eq_u32_sdwa vcc, v8, v6 src0_sel:WORD_0 src1_sel:DWORD
	v_cndmask_b32_e32 v18, v7, v8, vcc
; %bb.21:
	s_or_b64 exec, exec, s[6:7]
	s_mov_b32 s6, 0x7f800000
	v_and_b32_e32 v6, 0x7f800000, v9
	v_cmp_ne_u32_e32 vcc, s6, v6
                                        ; implicit-def: $vgpr19
	s_and_saveexec_b64 s[6:7], vcc
	s_xor_b64 s[6:7], exec, s[6:7]
; %bb.22:
	v_bfe_u32 v6, v9, 16, 1
	s_movk_i32 s24, 0x7fff
	v_add3_u32 v19, v9, v6, s24
                                        ; implicit-def: $vgpr6_vgpr7_vgpr8_vgpr9
; %bb.23:
	s_andn2_saveexec_b64 s[6:7], s[6:7]
; %bb.24:
	v_mov_b32_e32 v6, 0
	v_or_b32_e32 v7, 0x10000, v9
	v_cmp_eq_u32_sdwa vcc, v9, v6 src0_sel:WORD_0 src1_sel:DWORD
	v_cndmask_b32_e32 v19, v7, v9, vcc
; %bb.25:
	s_or_b64 exec, exec, s[6:7]
	s_mov_b32 s6, 0x7060302
	v_perm_b32 v6, v17, v16, s6
	v_perm_b32 v7, v19, v18, s6
.LBB0_26:
	s_or_b64 exec, exec, s[4:5]
	s_movk_i32 s4, 0x44
	v_mad_u32_u24 v39, v15, s4, v11
	v_and_b32_e32 v25, 15, v0
	s_mov_b32 s24, 1
	v_lshlrev_b32_e32 v8, 1, v39
	s_cmp_lt_i32 s18, 1
	ds_write_b64 v8, v[6:7]
	s_waitcnt lgkmcnt(0)
	s_barrier
	s_cbranch_scc1 .LBB0_97
; %bb.27:
	s_add_i32 s4, s18, 63
	s_ashr_i32 s5, s4, 31
	s_lshr_b32 s5, s5, 26
	s_add_i32 s4, s4, s5
	s_ashr_i32 s25, s4, 6
	v_mad_u64_u32 v[6:7], s[4:5], s18, v13, 0
	v_mov_b32_e32 v8, v7
	v_mad_u64_u32 v[8:9], s[4:5], s18, v14, v[8:9]
	v_mov_b32_e32 v7, v8
	v_lshlrev_b64 v[6:7], 2, v[6:7]
	v_mov_b32_e32 v8, s11
	v_add_co_u32_e32 v6, vcc, s10, v6
	v_addc_co_u32_e32 v7, vcc, v8, v7, vcc
	v_add_co_u32_e32 v6, vcc, v6, v12
	v_addc_co_u32_e32 v7, vcc, 0, v7, vcc
	s_movk_i32 s5, 0x100
	s_max_i32 s4, s25, 1
	v_add_co_u32_e32 v26, vcc, s5, v6
	v_add3_u32 v1, s28, v1, v25
	v_or_b32_e32 v8, v10, v25
	v_addc_co_u32_e32 v27, vcc, 0, v7, vcc
	s_lshl_b32 s27, s4, 6
	v_mad_u64_u32 v[6:7], s[4:5], v1, s18, 0
	v_cmp_gt_i32_e64 s[10:11], s16, v8
	v_ashrrev_i32_e32 v9, 31, v1
	v_mov_b32_e32 v8, v7
	v_mad_u64_u32 v[8:9], s[4:5], v9, s18, v[8:9]
	v_mov_b32_e32 v7, v8
	v_lshrrev_b32_e32 v0, 1, v0
	v_lshlrev_b64 v[6:7], 1, v[6:7]
	v_and_b32_e32 v0, 24, v0
	v_add_co_u32_e32 v0, vcc, v6, v0
	v_addc_co_u32_e32 v1, vcc, 0, v7, vcc
	v_mov_b32_e32 v6, s23
	v_add_co_u32_e32 v0, vcc, s22, v0
	v_addc_co_u32_e32 v1, vcc, v1, v6, vcc
	s_movk_i32 s4, 0x64
	v_or_b32_e32 v41, 64, v11
	v_add_co_u32_e32 v28, vcc, s4, v0
	v_pk_mov_b32 v[16:17], v[4:5], v[4:5] op_sel:[0,1]
	v_pk_mov_b32 v[12:13], v[4:5], v[4:5] op_sel:[0,1]
	;; [unrolled: 1-line block ×3, first 2 shown]
	s_mov_b32 s26, 0
	v_mul_u32_u24_e32 v40, 0x88, v25
	v_addc_co_u32_e32 v29, vcc, 0, v1, vcc
	s_mov_b32 s28, 0x7f800000
	s_movk_i32 s29, 0x7fff
	s_mov_b32 s30, 0xffff
	s_mov_b32 s31, 0x7060302
	;; [unrolled: 1-line block ×3, first 2 shown]
	v_mov_b32_e32 v42, 0
	v_pk_mov_b32 v[14:15], v[2:3], v[2:3] op_sel:[0,1]
	v_pk_mov_b32 v[10:11], v[2:3], v[2:3] op_sel:[0,1]
	;; [unrolled: 1-line block ×3, first 2 shown]
	s_branch .LBB0_30
.LBB0_28:                               ;   in Loop: Header=BB0_30 Depth=1
	s_or_b64 exec, exec, s[6:7]
.LBB0_29:                               ;   in Loop: Header=BB0_30 Depth=1
	s_or_b64 exec, exec, s[4:5]
	ds_read2_b64 v[16:19], v43 offset0:8 offset1:12
	v_add_co_u32_e32 v26, vcc, 0x100, v26
	v_addc_co_u32_e32 v27, vcc, 0, v27, vcc
	s_waitcnt vmcnt(0) lgkmcnt(0)
	v_mfma_f32_16x16x16bf16_1k v[12:15], v[34:35], v[16:17], v[12:15]
	v_add_u32_e32 v16, 0x880, v43
	ds_read2_b64 v[20:23], v16 offset0:8 offset1:12
	v_add_u32_e32 v16, 0x1100, v43
	ds_read2_b64 v[44:47], v16 offset0:8 offset1:12
	s_add_i32 s26, s26, 64
	s_add_i32 s24, s24, 1
	v_add_co_u32_e32 v28, vcc, 0x80, v28
	s_waitcnt lgkmcnt(0)
	v_mfma_f32_16x16x16bf16_1k v[48:51], v[34:35], v[44:45], v[0:3]
	v_addc_co_u32_e32 v29, vcc, 0, v29, vcc
	s_cmp_eq_u32 s27, s26
	s_nop 4
	v_add_u32_e32 v0, 0x1980, v43
	ds_read2_b64 v[52:55], v0 offset0:8 offset1:12
	v_mfma_f32_16x16x16bf16_1k v[8:11], v[34:35], v[20:21], v[8:11]
	s_waitcnt lgkmcnt(0)
	s_barrier
	v_mfma_f32_16x16x16bf16_1k v[34:37], v[34:35], v[52:53], v[4:7]
	v_mfma_f32_16x16x16bf16_1k v[2:5], v[32:33], v[18:19], v[12:15]
	;; [unrolled: 1-line block ×5, first 2 shown]
	s_cbranch_scc1 .LBB0_98
.LBB0_30:                               ; =>This Inner Loop Header: Depth=1
	s_add_i32 s4, s24, -1
	s_and_b32 s34, s4, 1
	s_cmp_ge_i32 s24, s25
	s_cbranch_scc1 .LBB0_50
; %bb.31:                               ;   in Loop: Header=BB0_30 Depth=1
	v_add_u32_e32 v0, s26, v41
	v_cmp_gt_i32_e32 vcc, s18, v0
	s_and_b64 s[6:7], s[8:9], vcc
	v_mov_b32_e32 v1, 0
	v_mov_b32_e32 v0, 0
	s_and_saveexec_b64 s[4:5], s[6:7]
	s_cbranch_execz .LBB0_49
; %bb.32:                               ;   in Loop: Header=BB0_30 Depth=1
	global_load_dwordx4 v[18:21], v[26:27], off
	s_waitcnt vmcnt(0)
	v_and_b32_e32 v0, 0x7f800000, v18
	v_cmp_ne_u32_e32 vcc, s28, v0
                                        ; implicit-def: $vgpr0
	s_and_saveexec_b64 s[6:7], vcc
	s_xor_b64 s[6:7], exec, s[6:7]
; %bb.33:                               ;   in Loop: Header=BB0_30 Depth=1
	v_bfe_u32 v0, v18, 16, 1
	v_add3_u32 v0, v18, v0, s29
; %bb.34:                               ;   in Loop: Header=BB0_30 Depth=1
	s_andn2_saveexec_b64 s[6:7], s[6:7]
; %bb.35:                               ;   in Loop: Header=BB0_30 Depth=1
	v_or_b32_e32 v0, 0x10000, v18
	v_cmp_eq_u32_sdwa vcc, v18, v42 src0_sel:WORD_0 src1_sel:DWORD
	v_cndmask_b32_e32 v0, v0, v18, vcc
; %bb.36:                               ;   in Loop: Header=BB0_30 Depth=1
	s_or_b64 exec, exec, s[6:7]
	v_and_b32_e32 v1, 0x7f800000, v19
	v_cmp_ne_u32_e32 vcc, s28, v1
                                        ; implicit-def: $vgpr1
	s_and_saveexec_b64 s[6:7], vcc
	s_xor_b64 s[6:7], exec, s[6:7]
; %bb.37:                               ;   in Loop: Header=BB0_30 Depth=1
	v_bfe_u32 v1, v19, 16, 1
	v_add3_u32 v1, v19, v1, s29
; %bb.38:                               ;   in Loop: Header=BB0_30 Depth=1
	s_andn2_saveexec_b64 s[6:7], s[6:7]
; %bb.39:                               ;   in Loop: Header=BB0_30 Depth=1
	v_or_b32_e32 v1, 0x10000, v19
	v_cmp_eq_u32_sdwa vcc, v19, v42 src0_sel:WORD_0 src1_sel:DWORD
	v_cndmask_b32_e32 v1, v1, v19, vcc
; %bb.40:                               ;   in Loop: Header=BB0_30 Depth=1
	s_or_b64 exec, exec, s[6:7]
	v_and_b32_e32 v18, 0x7f800000, v20
	v_cmp_ne_u32_e32 vcc, s28, v18
                                        ; implicit-def: $vgpr22
	s_and_saveexec_b64 s[6:7], vcc
	s_xor_b64 s[6:7], exec, s[6:7]
; %bb.41:                               ;   in Loop: Header=BB0_30 Depth=1
	v_bfe_u32 v18, v20, 16, 1
	v_add3_u32 v22, v20, v18, s29
; %bb.42:                               ;   in Loop: Header=BB0_30 Depth=1
	s_andn2_saveexec_b64 s[6:7], s[6:7]
; %bb.43:                               ;   in Loop: Header=BB0_30 Depth=1
	v_or_b32_e32 v18, 0x10000, v20
	v_cmp_eq_u32_sdwa vcc, v20, v42 src0_sel:WORD_0 src1_sel:DWORD
	v_cndmask_b32_e32 v22, v18, v20, vcc
; %bb.44:                               ;   in Loop: Header=BB0_30 Depth=1
	s_or_b64 exec, exec, s[6:7]
	v_and_b32_e32 v18, 0x7f800000, v21
	v_cmp_ne_u32_e32 vcc, s28, v18
                                        ; implicit-def: $vgpr23
	s_and_saveexec_b64 s[6:7], vcc
	s_xor_b64 s[6:7], exec, s[6:7]
; %bb.45:                               ;   in Loop: Header=BB0_30 Depth=1
	v_bfe_u32 v18, v21, 16, 1
	v_add3_u32 v23, v21, v18, s29
                                        ; implicit-def: $vgpr18_vgpr19_vgpr20_vgpr21
; %bb.46:                               ;   in Loop: Header=BB0_30 Depth=1
	s_andn2_saveexec_b64 s[6:7], s[6:7]
; %bb.47:                               ;   in Loop: Header=BB0_30 Depth=1
	v_or_b32_e32 v18, 0x10000, v21
	v_cmp_eq_u32_sdwa vcc, v21, v42 src0_sel:WORD_0 src1_sel:DWORD
	v_cndmask_b32_e32 v23, v18, v21, vcc
; %bb.48:                               ;   in Loop: Header=BB0_30 Depth=1
	s_or_b64 exec, exec, s[6:7]
	v_perm_b32 v0, v1, v0, s31
	v_perm_b32 v1, v23, v22, s31
.LBB0_49:                               ;   in Loop: Header=BB0_30 Depth=1
	s_or_b64 exec, exec, s[4:5]
	s_xor_b32 s4, s34, 1
	s_mulk_i32 s4, 0x2200
	v_lshl_add_u32 v18, v39, 1, s4
	ds_write_b64 v18, v[0:1]
.LBB0_50:                               ;   in Loop: Header=BB0_30 Depth=1
	v_mov_b32_e32 v30, 0
	s_nop 0
	v_mov_b32_e32 v36, 0
	v_mov_b32_e32 v37, 0
	s_and_saveexec_b64 s[4:5], s[10:11]
	s_cbranch_execz .LBB0_62
; %bb.51:                               ;   in Loop: Header=BB0_30 Depth=1
	v_add_u32_e32 v0, s26, v38
	v_add_u32_e32 v1, 3, v0
	v_cmp_le_i32_e32 vcc, s18, v1
                                        ; implicit-def: $vgpr37
	s_and_saveexec_b64 s[6:7], vcc
	s_xor_b64 s[6:7], exec, s[6:7]
	s_cbranch_execz .LBB0_59
; %bb.52:                               ;   in Loop: Header=BB0_30 Depth=1
	v_cmp_gt_i32_e32 vcc, s18, v0
	v_mov_b32_e32 v37, 0
	v_mov_b32_e32 v36, 0
	s_and_saveexec_b64 s[22:23], vcc
	s_cbranch_execz .LBB0_54
; %bb.53:                               ;   in Loop: Header=BB0_30 Depth=1
	global_load_ushort v1, v[28:29], off offset:-100
	s_waitcnt vmcnt(0)
	v_and_b32_e32 v36, 0xffff, v1
.LBB0_54:                               ;   in Loop: Header=BB0_30 Depth=1
	s_or_b64 exec, exec, s[22:23]
	v_add_u32_e32 v1, 1, v0
	v_cmp_gt_i32_e32 vcc, s18, v1
	s_and_saveexec_b64 s[22:23], vcc
	s_cbranch_execz .LBB0_56
; %bb.55:                               ;   in Loop: Header=BB0_30 Depth=1
	global_load_ushort v1, v[28:29], off offset:-98
	s_waitcnt vmcnt(0)
	v_perm_b32 v36, v1, v36, s33
.LBB0_56:                               ;   in Loop: Header=BB0_30 Depth=1
	s_or_b64 exec, exec, s[22:23]
	v_add_u32_e32 v0, 2, v0
	v_cmp_gt_i32_e32 vcc, s18, v0
	s_and_saveexec_b64 s[22:23], vcc
	s_cbranch_execz .LBB0_58
; %bb.57:                               ;   in Loop: Header=BB0_30 Depth=1
	global_load_ushort v0, v[28:29], off offset:-96
	s_waitcnt vmcnt(0)
	v_bfi_b32 v37, s30, v0, v37
.LBB0_58:                               ;   in Loop: Header=BB0_30 Depth=1
	s_or_b64 exec, exec, s[22:23]
.LBB0_59:                               ;   in Loop: Header=BB0_30 Depth=1
	s_andn2_saveexec_b64 s[6:7], s[6:7]
	s_cbranch_execz .LBB0_61
; %bb.60:                               ;   in Loop: Header=BB0_30 Depth=1
	global_load_dwordx2 v[36:37], v[28:29], off offset:-100
.LBB0_61:                               ;   in Loop: Header=BB0_30 Depth=1
	s_or_b64 exec, exec, s[6:7]
.LBB0_62:                               ;   in Loop: Header=BB0_30 Depth=1
	s_or_b64 exec, exec, s[4:5]
	v_mov_b32_e32 v31, 0
	s_and_saveexec_b64 s[4:5], s[10:11]
	s_cbranch_execz .LBB0_74
; %bb.63:                               ;   in Loop: Header=BB0_30 Depth=1
	v_add_u32_e32 v0, s26, v38
	v_add_u32_e32 v1, 19, v0
	v_cmp_le_i32_e32 vcc, s18, v1
                                        ; implicit-def: $vgpr31
	s_and_saveexec_b64 s[6:7], vcc
	s_xor_b64 s[6:7], exec, s[6:7]
	s_cbranch_execz .LBB0_71
; %bb.64:                               ;   in Loop: Header=BB0_30 Depth=1
	v_add_u32_e32 v1, 16, v0
	v_cmp_gt_i32_e32 vcc, s18, v1
	v_mov_b32_e32 v31, 0
	v_mov_b32_e32 v30, 0
	s_and_saveexec_b64 s[22:23], vcc
	s_cbranch_execz .LBB0_66
; %bb.65:                               ;   in Loop: Header=BB0_30 Depth=1
	global_load_ushort v1, v[28:29], off offset:-68
	s_waitcnt vmcnt(0)
	v_and_b32_e32 v30, 0xffff, v1
.LBB0_66:                               ;   in Loop: Header=BB0_30 Depth=1
	s_or_b64 exec, exec, s[22:23]
	v_add_u32_e32 v1, 17, v0
	v_cmp_gt_i32_e32 vcc, s18, v1
	s_and_saveexec_b64 s[22:23], vcc
	s_cbranch_execz .LBB0_68
; %bb.67:                               ;   in Loop: Header=BB0_30 Depth=1
	global_load_ushort v1, v[28:29], off offset:-66
	s_waitcnt vmcnt(0)
	v_perm_b32 v30, v1, v30, s33
.LBB0_68:                               ;   in Loop: Header=BB0_30 Depth=1
	s_or_b64 exec, exec, s[22:23]
	v_add_u32_e32 v0, 18, v0
	v_cmp_gt_i32_e32 vcc, s18, v0
	s_and_saveexec_b64 s[22:23], vcc
	s_cbranch_execz .LBB0_70
; %bb.69:                               ;   in Loop: Header=BB0_30 Depth=1
	global_load_ushort v0, v[28:29], off offset:-64
	s_waitcnt vmcnt(0)
	v_bfi_b32 v31, s30, v0, v31
.LBB0_70:                               ;   in Loop: Header=BB0_30 Depth=1
	s_or_b64 exec, exec, s[22:23]
.LBB0_71:                               ;   in Loop: Header=BB0_30 Depth=1
	s_andn2_saveexec_b64 s[6:7], s[6:7]
	s_cbranch_execz .LBB0_73
; %bb.72:                               ;   in Loop: Header=BB0_30 Depth=1
	global_load_dwordx2 v[30:31], v[28:29], off offset:-68
.LBB0_73:                               ;   in Loop: Header=BB0_30 Depth=1
	s_or_b64 exec, exec, s[6:7]
.LBB0_74:                               ;   in Loop: Header=BB0_30 Depth=1
	s_or_b64 exec, exec, s[4:5]
	s_mulk_i32 s34, 0x2200
	v_add_u32_e32 v0, s34, v40
	v_lshl_add_u32 v43, v38, 1, v0
	ds_read_b64 v[0:1], v43
	ds_read_b64 v[18:19], v43 offset:2176
	ds_read_b64 v[20:21], v43 offset:4352
	;; [unrolled: 1-line block ×3, first 2 shown]
	v_mov_b32_e32 v32, 0
	s_waitcnt vmcnt(0) lgkmcnt(3)
	v_mfma_f32_16x16x16bf16_1k v[0:3], v[36:37], v[0:1], v[2:5]
	v_mov_b32_e32 v34, 0
	v_mov_b32_e32 v35, 0
	s_waitcnt lgkmcnt(2)
	v_mfma_f32_16x16x16bf16_1k v[16:19], v[36:37], v[18:19], v[14:17]
	s_waitcnt lgkmcnt(1)
	v_mfma_f32_16x16x16bf16_1k v[20:23], v[36:37], v[20:21], v[10:13]
	;; [unrolled: 2-line block ×3, first 2 shown]
	s_and_saveexec_b64 s[4:5], s[10:11]
	s_cbranch_execz .LBB0_86
; %bb.75:                               ;   in Loop: Header=BB0_30 Depth=1
	s_nop 4
	v_add_u32_e32 v8, s26, v38
	v_add_u32_e32 v9, 35, v8
	v_cmp_le_i32_e32 vcc, s18, v9
                                        ; implicit-def: $vgpr35
	s_and_saveexec_b64 s[6:7], vcc
	s_xor_b64 s[6:7], exec, s[6:7]
	s_cbranch_execz .LBB0_83
; %bb.76:                               ;   in Loop: Header=BB0_30 Depth=1
	v_add_u32_e32 v9, 32, v8
	v_cmp_gt_i32_e32 vcc, s18, v9
	v_mov_b32_e32 v35, 0
	v_mov_b32_e32 v34, 0
	s_and_saveexec_b64 s[22:23], vcc
	s_cbranch_execz .LBB0_78
; %bb.77:                               ;   in Loop: Header=BB0_30 Depth=1
	global_load_ushort v9, v[28:29], off offset:-36
	s_waitcnt vmcnt(0)
	v_and_b32_e32 v34, 0xffff, v9
.LBB0_78:                               ;   in Loop: Header=BB0_30 Depth=1
	s_or_b64 exec, exec, s[22:23]
	v_add_u32_e32 v9, 33, v8
	v_cmp_gt_i32_e32 vcc, s18, v9
	s_and_saveexec_b64 s[22:23], vcc
	s_cbranch_execz .LBB0_80
; %bb.79:                               ;   in Loop: Header=BB0_30 Depth=1
	global_load_ushort v9, v[28:29], off offset:-34
	s_waitcnt vmcnt(0)
	v_perm_b32 v34, v9, v34, s33
.LBB0_80:                               ;   in Loop: Header=BB0_30 Depth=1
	s_or_b64 exec, exec, s[22:23]
	v_add_u32_e32 v8, 34, v8
	v_cmp_gt_i32_e32 vcc, s18, v8
	s_and_saveexec_b64 s[22:23], vcc
	s_cbranch_execz .LBB0_82
; %bb.81:                               ;   in Loop: Header=BB0_30 Depth=1
	global_load_ushort v8, v[28:29], off offset:-32
	s_waitcnt vmcnt(0)
	v_bfi_b32 v35, s30, v8, v35
.LBB0_82:                               ;   in Loop: Header=BB0_30 Depth=1
	s_or_b64 exec, exec, s[22:23]
.LBB0_83:                               ;   in Loop: Header=BB0_30 Depth=1
	s_andn2_saveexec_b64 s[6:7], s[6:7]
	s_cbranch_execz .LBB0_85
; %bb.84:                               ;   in Loop: Header=BB0_30 Depth=1
	global_load_dwordx2 v[34:35], v[28:29], off offset:-36
.LBB0_85:                               ;   in Loop: Header=BB0_30 Depth=1
	s_or_b64 exec, exec, s[6:7]
.LBB0_86:                               ;   in Loop: Header=BB0_30 Depth=1
	s_or_b64 exec, exec, s[4:5]
	s_nop 3
	ds_read_b64 v[8:9], v43 offset:32
	ds_read_b64 v[10:11], v43 offset:2208
	;; [unrolled: 1-line block ×4, first 2 shown]
	v_mov_b32_e32 v33, 0
	s_waitcnt lgkmcnt(3)
	v_mfma_f32_16x16x16bf16_1k v[12:15], v[30:31], v[8:9], v[0:3]
	s_waitcnt lgkmcnt(2)
	v_mfma_f32_16x16x16bf16_1k v[8:11], v[30:31], v[10:11], v[16:19]
	;; [unrolled: 2-line block ×4, first 2 shown]
	s_and_saveexec_b64 s[4:5], s[10:11]
	s_cbranch_execz .LBB0_29
; %bb.87:                               ;   in Loop: Header=BB0_30 Depth=1
	s_nop 0
	v_add_u32_e32 v16, s26, v38
	v_add_u32_e32 v17, 51, v16
	v_cmp_le_i32_e32 vcc, s18, v17
                                        ; implicit-def: $vgpr33
	s_and_saveexec_b64 s[6:7], vcc
	s_xor_b64 s[6:7], exec, s[6:7]
	s_cbranch_execz .LBB0_95
; %bb.88:                               ;   in Loop: Header=BB0_30 Depth=1
	v_add_u32_e32 v17, 48, v16
	v_cmp_gt_i32_e32 vcc, s18, v17
	v_mov_b32_e32 v33, 0
	v_mov_b32_e32 v32, 0
	s_and_saveexec_b64 s[22:23], vcc
	s_cbranch_execz .LBB0_90
; %bb.89:                               ;   in Loop: Header=BB0_30 Depth=1
	global_load_ushort v17, v[28:29], off offset:-4
	s_waitcnt vmcnt(0)
	v_and_b32_e32 v32, 0xffff, v17
.LBB0_90:                               ;   in Loop: Header=BB0_30 Depth=1
	s_or_b64 exec, exec, s[22:23]
	v_add_u32_e32 v17, 49, v16
	v_cmp_gt_i32_e32 vcc, s18, v17
	s_and_saveexec_b64 s[22:23], vcc
	s_cbranch_execz .LBB0_92
; %bb.91:                               ;   in Loop: Header=BB0_30 Depth=1
	global_load_ushort v17, v[28:29], off offset:-2
	s_waitcnt vmcnt(0)
	v_perm_b32 v32, v17, v32, s33
.LBB0_92:                               ;   in Loop: Header=BB0_30 Depth=1
	s_or_b64 exec, exec, s[22:23]
	v_add_u32_e32 v16, 50, v16
	v_cmp_gt_i32_e32 vcc, s18, v16
	s_and_saveexec_b64 s[22:23], vcc
	s_cbranch_execz .LBB0_94
; %bb.93:                               ;   in Loop: Header=BB0_30 Depth=1
	global_load_ushort v16, v[28:29], off
	s_waitcnt vmcnt(0)
	v_bfi_b32 v33, s30, v16, v33
.LBB0_94:                               ;   in Loop: Header=BB0_30 Depth=1
	s_or_b64 exec, exec, s[22:23]
.LBB0_95:                               ;   in Loop: Header=BB0_30 Depth=1
	s_andn2_saveexec_b64 s[6:7], s[6:7]
	s_cbranch_execz .LBB0_28
; %bb.96:                               ;   in Loop: Header=BB0_30 Depth=1
	global_load_dwordx2 v[32:33], v[28:29], off offset:-4
	s_branch .LBB0_28
.LBB0_97:
	v_pk_mov_b32 v[16:17], v[4:5], v[4:5] op_sel:[0,1]
	v_pk_mov_b32 v[12:13], v[4:5], v[4:5] op_sel:[0,1]
	;; [unrolled: 1-line block ×6, first 2 shown]
.LBB0_98:
	v_or_b32_e32 v18, s19, v25
	v_or_b32_e32 v20, 16, v18
	;; [unrolled: 1-line block ×4, first 2 shown]
	v_cmp_gt_i32_e32 vcc, s17, v18
	s_and_saveexec_b64 s[4:5], s[14:15]
	s_xor_b64 s[14:15], exec, s[4:5]
	s_cbranch_execz .LBB0_118
; %bb.99:
	v_mad_i64_i32 v[18:19], s[4:5], s16, v18, 0
	v_lshlrev_b64 v[18:19], 2, v[18:19]
	v_mov_b32_e32 v22, s21
	v_add_co_u32_e64 v18, s[4:5], s20, v18
	v_addc_co_u32_e64 v19, s[4:5], v22, v19, s[4:5]
	v_cmp_gt_i32_e64 s[10:11], s17, v20
	v_mad_i64_i32 v[20:21], s[4:5], s16, v20, 0
	v_lshlrev_b64 v[20:21], 2, v[20:21]
	v_add_co_u32_e64 v13, s[4:5], s20, v20
	v_addc_co_u32_e64 v17, s[4:5], v22, v21, s[4:5]
	v_mad_i64_i32 v[20:21], s[4:5], s16, v1, 0
	v_lshlrev_b64 v[20:21], 2, v[20:21]
	v_add_co_u32_e64 v5, s[4:5], s20, v20
	v_cmp_gt_i32_e64 s[8:9], s17, v1
	v_addc_co_u32_e64 v9, s[4:5], v22, v21, s[4:5]
	v_cmp_gt_i32_e64 s[6:7], s17, v0
	v_mad_i64_i32 v[0:1], s[4:5], s16, v0, 0
	v_lshlrev_b64 v[0:1], 2, v[0:1]
	v_add_co_u32_e64 v0, s[4:5], s20, v0
	v_addc_co_u32_e64 v1, s[4:5], v22, v1, s[4:5]
	s_and_saveexec_b64 s[18:19], s[12:13]
	s_cbranch_execz .LBB0_105
; %bb.100:
	s_and_saveexec_b64 s[12:13], vcc
	s_cbranch_execnz .LBB0_128
; %bb.101:
	s_or_b64 exec, exec, s[12:13]
	s_and_saveexec_b64 s[12:13], s[10:11]
	s_cbranch_execnz .LBB0_129
.LBB0_102:
	s_or_b64 exec, exec, s[12:13]
	s_and_saveexec_b64 s[12:13], s[8:9]
	s_cbranch_execnz .LBB0_130
.LBB0_103:
	s_or_b64 exec, exec, s[12:13]
	s_and_b64 exec, exec, s[6:7]
	s_cbranch_execz .LBB0_105
.LBB0_104:
	v_ashrrev_i32_e32 v25, 31, v24
	v_lshlrev_b64 v[20:21], 2, v[24:25]
	v_add_co_u32_e64 v20, s[4:5], v0, v20
	v_addc_co_u32_e64 v21, s[4:5], v1, v21, s[4:5]
	global_store_dword v[20:21], v6, off glc slc
.LBB0_105:
	s_or_b64 exec, exec, s[18:19]
	s_and_saveexec_b64 s[4:5], s[2:3]
	s_cbranch_execz .LBB0_111
; %bb.106:
	s_and_saveexec_b64 s[12:13], vcc
	s_cbranch_execnz .LBB0_131
; %bb.107:
	s_or_b64 exec, exec, s[12:13]
	s_and_saveexec_b64 s[12:13], s[10:11]
	s_cbranch_execnz .LBB0_132
.LBB0_108:
	s_or_b64 exec, exec, s[12:13]
	s_and_saveexec_b64 s[12:13], s[8:9]
	s_cbranch_execnz .LBB0_133
.LBB0_109:
	s_or_b64 exec, exec, s[12:13]
	s_and_b64 exec, exec, s[6:7]
	s_cbranch_execz .LBB0_111
.LBB0_110:
	v_ashrrev_i32_e32 v25, 31, v24
	v_lshlrev_b64 v[2:3], 2, v[24:25]
	v_add_co_u32_e64 v2, s[2:3], v0, v2
	v_addc_co_u32_e64 v3, s[2:3], v1, v3, s[2:3]
	global_store_dword v[2:3], v7, off offset:4 glc slc
.LBB0_111:
	s_or_b64 exec, exec, s[4:5]
	s_and_saveexec_b64 s[2:3], s[0:1]
	s_cbranch_execz .LBB0_117
; %bb.112:
	s_and_saveexec_b64 s[4:5], vcc
	s_cbranch_execnz .LBB0_134
; %bb.113:
	s_or_b64 exec, exec, s[4:5]
	s_and_saveexec_b64 s[4:5], s[10:11]
	s_cbranch_execnz .LBB0_135
.LBB0_114:
	s_or_b64 exec, exec, s[4:5]
	s_and_saveexec_b64 s[4:5], s[8:9]
	s_cbranch_execnz .LBB0_136
.LBB0_115:
	s_or_b64 exec, exec, s[4:5]
	s_and_b64 exec, exec, s[6:7]
	s_cbranch_execz .LBB0_117
.LBB0_116:
	v_ashrrev_i32_e32 v25, 31, v24
	v_lshlrev_b64 v[2:3], 2, v[24:25]
	v_add_co_u32_e64 v0, s[0:1], v0, v2
	v_addc_co_u32_e64 v1, s[0:1], v1, v3, s[0:1]
	global_store_dword v[0:1], v8, off offset:8 glc slc
.LBB0_117:
	s_or_b64 exec, exec, s[2:3]
                                        ; implicit-def: $vgpr24
                                        ; implicit-def: $vgpr18
                                        ; implicit-def: $vgpr20
                                        ; implicit-def: $vgpr1
                                        ; implicit-def: $vgpr0
                                        ; implicit-def: $vgpr2_vgpr3_vgpr4_vgpr5
                                        ; implicit-def: $vgpr14_vgpr15_vgpr16_vgpr17
                                        ; implicit-def: $vgpr10_vgpr11_vgpr12_vgpr13
                                        ; implicit-def: $vgpr6_vgpr7_vgpr8_vgpr9
.LBB0_118:
	s_andn2_saveexec_b64 s[0:1], s[14:15]
	s_cbranch_execz .LBB0_124
; %bb.119:
	s_and_saveexec_b64 s[0:1], vcc
	s_cbranch_execnz .LBB0_125
; %bb.120:
	s_or_b64 exec, exec, s[0:1]
	v_cmp_gt_i32_e32 vcc, s17, v20
	s_and_saveexec_b64 s[0:1], vcc
	s_cbranch_execnz .LBB0_126
.LBB0_121:
	s_or_b64 exec, exec, s[0:1]
	v_cmp_gt_i32_e32 vcc, s17, v1
	s_and_saveexec_b64 s[0:1], vcc
	s_cbranch_execnz .LBB0_127
.LBB0_122:
	s_or_b64 exec, exec, s[0:1]
	v_cmp_gt_i32_e32 vcc, s17, v0
	s_and_saveexec_b64 s[0:1], vcc
	s_cbranch_execz .LBB0_124
.LBB0_123:
	v_mad_i64_i32 v[0:1], s[0:1], s16, v0, 0
	v_lshlrev_b64 v[0:1], 2, v[0:1]
	v_ashrrev_i32_e32 v25, 31, v24
	v_mov_b32_e32 v2, s21
	v_add_co_u32_e32 v3, vcc, s20, v0
	v_addc_co_u32_e32 v2, vcc, v2, v1, vcc
	v_lshlrev_b64 v[0:1], 2, v[24:25]
	v_add_co_u32_e32 v0, vcc, v3, v0
	v_addc_co_u32_e32 v1, vcc, v2, v1, vcc
	global_store_dwordx4 v[0:1], v[6:9], off
.LBB0_124:
	s_endpgm
.LBB0_125:
	v_mad_i64_i32 v[18:19], s[2:3], s16, v18, 0
	v_lshlrev_b64 v[18:19], 2, v[18:19]
	v_ashrrev_i32_e32 v25, 31, v24
	v_mov_b32_e32 v21, s21
	v_add_co_u32_e32 v22, vcc, s20, v18
	v_addc_co_u32_e32 v21, vcc, v21, v19, vcc
	v_lshlrev_b64 v[18:19], 2, v[24:25]
	v_add_co_u32_e32 v18, vcc, v22, v18
	v_addc_co_u32_e32 v19, vcc, v21, v19, vcc
	global_store_dwordx4 v[18:19], v[2:5], off
	s_or_b64 exec, exec, s[0:1]
	v_cmp_gt_i32_e32 vcc, s17, v20
	s_and_saveexec_b64 s[0:1], vcc
	s_cbranch_execz .LBB0_121
.LBB0_126:
	v_mad_i64_i32 v[2:3], s[2:3], s16, v20, 0
	v_lshlrev_b64 v[2:3], 2, v[2:3]
	v_ashrrev_i32_e32 v25, 31, v24
	v_mov_b32_e32 v4, s21
	v_add_co_u32_e32 v5, vcc, s20, v2
	v_addc_co_u32_e32 v4, vcc, v4, v3, vcc
	v_lshlrev_b64 v[2:3], 2, v[24:25]
	v_add_co_u32_e32 v2, vcc, v5, v2
	v_addc_co_u32_e32 v3, vcc, v4, v3, vcc
	global_store_dwordx4 v[2:3], v[14:17], off
	s_or_b64 exec, exec, s[0:1]
	v_cmp_gt_i32_e32 vcc, s17, v1
	s_and_saveexec_b64 s[0:1], vcc
	s_cbranch_execz .LBB0_122
.LBB0_127:
	v_mad_i64_i32 v[2:3], s[2:3], s16, v1, 0
	v_lshlrev_b64 v[2:3], 2, v[2:3]
	v_ashrrev_i32_e32 v25, 31, v24
	v_mov_b32_e32 v1, s21
	v_add_co_u32_e32 v4, vcc, s20, v2
	v_addc_co_u32_e32 v1, vcc, v1, v3, vcc
	v_lshlrev_b64 v[2:3], 2, v[24:25]
	v_add_co_u32_e32 v2, vcc, v4, v2
	v_addc_co_u32_e32 v3, vcc, v1, v3, vcc
	global_store_dwordx4 v[2:3], v[10:13], off
	s_or_b64 exec, exec, s[0:1]
	v_cmp_gt_i32_e32 vcc, s17, v0
	s_and_saveexec_b64 s[0:1], vcc
	s_cbranch_execnz .LBB0_123
	s_branch .LBB0_124
.LBB0_128:
	v_ashrrev_i32_e32 v25, 31, v24
	v_lshlrev_b64 v[20:21], 2, v[24:25]
	v_add_co_u32_e64 v20, s[4:5], v18, v20
	v_addc_co_u32_e64 v21, s[4:5], v19, v21, s[4:5]
	global_store_dword v[20:21], v2, off glc slc
	s_or_b64 exec, exec, s[12:13]
	s_and_saveexec_b64 s[12:13], s[10:11]
	s_cbranch_execz .LBB0_102
.LBB0_129:
	v_ashrrev_i32_e32 v25, 31, v24
	v_lshlrev_b64 v[20:21], 2, v[24:25]
	v_add_co_u32_e64 v20, s[4:5], v13, v20
	v_addc_co_u32_e64 v21, s[4:5], v17, v21, s[4:5]
	global_store_dword v[20:21], v14, off glc slc
	s_or_b64 exec, exec, s[12:13]
	s_and_saveexec_b64 s[12:13], s[8:9]
	s_cbranch_execz .LBB0_103
.LBB0_130:
	v_ashrrev_i32_e32 v25, 31, v24
	v_lshlrev_b64 v[20:21], 2, v[24:25]
	v_add_co_u32_e64 v20, s[4:5], v5, v20
	v_addc_co_u32_e64 v21, s[4:5], v9, v21, s[4:5]
	global_store_dword v[20:21], v10, off glc slc
	s_or_b64 exec, exec, s[12:13]
	s_and_b64 exec, exec, s[6:7]
	s_cbranch_execnz .LBB0_104
	s_branch .LBB0_105
.LBB0_131:
	v_ashrrev_i32_e32 v25, 31, v24
	v_lshlrev_b64 v[20:21], 2, v[24:25]
	v_add_co_u32_e64 v20, s[2:3], v18, v20
	v_addc_co_u32_e64 v21, s[2:3], v19, v21, s[2:3]
	global_store_dword v[20:21], v3, off offset:4 glc slc
	s_or_b64 exec, exec, s[12:13]
	s_and_saveexec_b64 s[12:13], s[10:11]
	s_cbranch_execz .LBB0_108
.LBB0_132:
	v_ashrrev_i32_e32 v25, 31, v24
	v_lshlrev_b64 v[2:3], 2, v[24:25]
	v_add_co_u32_e64 v2, s[2:3], v13, v2
	v_addc_co_u32_e64 v3, s[2:3], v17, v3, s[2:3]
	global_store_dword v[2:3], v15, off offset:4 glc slc
	s_or_b64 exec, exec, s[12:13]
	s_and_saveexec_b64 s[12:13], s[8:9]
	s_cbranch_execz .LBB0_109
.LBB0_133:
	v_ashrrev_i32_e32 v25, 31, v24
	v_lshlrev_b64 v[2:3], 2, v[24:25]
	v_add_co_u32_e64 v2, s[2:3], v5, v2
	v_addc_co_u32_e64 v3, s[2:3], v9, v3, s[2:3]
	global_store_dword v[2:3], v11, off offset:4 glc slc
	s_or_b64 exec, exec, s[12:13]
	s_and_b64 exec, exec, s[6:7]
	s_cbranch_execnz .LBB0_110
	s_branch .LBB0_111
.LBB0_134:
	v_ashrrev_i32_e32 v25, 31, v24
	v_lshlrev_b64 v[2:3], 2, v[24:25]
	v_add_co_u32_e64 v2, s[0:1], v18, v2
	v_addc_co_u32_e64 v3, s[0:1], v19, v3, s[0:1]
	global_store_dword v[2:3], v4, off offset:8 glc slc
	s_or_b64 exec, exec, s[4:5]
	s_and_saveexec_b64 s[4:5], s[10:11]
	s_cbranch_execz .LBB0_114
.LBB0_135:
	v_ashrrev_i32_e32 v25, 31, v24
	v_lshlrev_b64 v[2:3], 2, v[24:25]
	v_add_co_u32_e64 v2, s[0:1], v13, v2
	v_addc_co_u32_e64 v3, s[0:1], v17, v3, s[0:1]
	global_store_dword v[2:3], v16, off offset:8 glc slc
	s_or_b64 exec, exec, s[4:5]
	s_and_saveexec_b64 s[4:5], s[8:9]
	s_cbranch_execz .LBB0_115
.LBB0_136:
	v_ashrrev_i32_e32 v25, 31, v24
	v_lshlrev_b64 v[2:3], 2, v[24:25]
	v_add_co_u32_e64 v2, s[0:1], v5, v2
	v_addc_co_u32_e64 v3, s[0:1], v9, v3, s[0:1]
	global_store_dword v[2:3], v12, off offset:8 glc slc
	s_or_b64 exec, exec, s[4:5]
	s_and_b64 exec, exec, s[6:7]
	s_cbranch_execnz .LBB0_116
	s_branch .LBB0_117
	.section	.rodata,"a",@progbits
	.p2align	6, 0x0
	.amdhsa_kernel _Z20gemm_bf16_f32_mfma_oPK14__hip_bfloat16PKfPfS1_iii
		.amdhsa_group_segment_fixed_size 17408
		.amdhsa_private_segment_fixed_size 0
		.amdhsa_kernarg_size 44
		.amdhsa_user_sgpr_count 6
		.amdhsa_user_sgpr_private_segment_buffer 1
		.amdhsa_user_sgpr_dispatch_ptr 0
		.amdhsa_user_sgpr_queue_ptr 0
		.amdhsa_user_sgpr_kernarg_segment_ptr 1
		.amdhsa_user_sgpr_dispatch_id 0
		.amdhsa_user_sgpr_flat_scratch_init 0
		.amdhsa_user_sgpr_kernarg_preload_length 0
		.amdhsa_user_sgpr_kernarg_preload_offset 0
		.amdhsa_user_sgpr_private_segment_size 0
		.amdhsa_uses_dynamic_stack 0
		.amdhsa_system_sgpr_private_segment_wavefront_offset 0
		.amdhsa_system_sgpr_workgroup_id_x 1
		.amdhsa_system_sgpr_workgroup_id_y 1
		.amdhsa_system_sgpr_workgroup_id_z 0
		.amdhsa_system_sgpr_workgroup_info 0
		.amdhsa_system_vgpr_workitem_id 0
		.amdhsa_next_free_vgpr 56
		.amdhsa_next_free_sgpr 35
		.amdhsa_accum_offset 56
		.amdhsa_reserve_vcc 1
		.amdhsa_reserve_flat_scratch 0
		.amdhsa_float_round_mode_32 0
		.amdhsa_float_round_mode_16_64 0
		.amdhsa_float_denorm_mode_32 3
		.amdhsa_float_denorm_mode_16_64 3
		.amdhsa_dx10_clamp 1
		.amdhsa_ieee_mode 1
		.amdhsa_fp16_overflow 0
		.amdhsa_tg_split 0
		.amdhsa_exception_fp_ieee_invalid_op 0
		.amdhsa_exception_fp_denorm_src 0
		.amdhsa_exception_fp_ieee_div_zero 0
		.amdhsa_exception_fp_ieee_overflow 0
		.amdhsa_exception_fp_ieee_underflow 0
		.amdhsa_exception_fp_ieee_inexact 0
		.amdhsa_exception_int_div_zero 0
	.end_amdhsa_kernel
	.text
.Lfunc_end0:
	.size	_Z20gemm_bf16_f32_mfma_oPK14__hip_bfloat16PKfPfS1_iii, .Lfunc_end0-_Z20gemm_bf16_f32_mfma_oPK14__hip_bfloat16PKfPfS1_iii
                                        ; -- End function
	.section	.AMDGPU.csdata,"",@progbits
; Kernel info:
; codeLenInByte = 3992
; NumSgprs: 39
; NumVgprs: 56
; NumAgprs: 0
; TotalNumVgprs: 56
; ScratchSize: 0
; MemoryBound: 0
; FloatMode: 240
; IeeeMode: 1
; LDSByteSize: 17408 bytes/workgroup (compile time only)
; SGPRBlocks: 4
; VGPRBlocks: 6
; NumSGPRsForWavesPerEU: 39
; NumVGPRsForWavesPerEU: 56
; AccumOffset: 56
; Occupancy: 8
; WaveLimiterHint : 0
; COMPUTE_PGM_RSRC2:SCRATCH_EN: 0
; COMPUTE_PGM_RSRC2:USER_SGPR: 6
; COMPUTE_PGM_RSRC2:TRAP_HANDLER: 0
; COMPUTE_PGM_RSRC2:TGID_X_EN: 1
; COMPUTE_PGM_RSRC2:TGID_Y_EN: 1
; COMPUTE_PGM_RSRC2:TGID_Z_EN: 0
; COMPUTE_PGM_RSRC2:TIDIG_COMP_CNT: 0
; COMPUTE_PGM_RSRC3_GFX90A:ACCUM_OFFSET: 13
; COMPUTE_PGM_RSRC3_GFX90A:TG_SPLIT: 0
	.text
	.p2alignl 6, 3212836864
	.fill 256, 4, 3212836864
	.type	__hip_cuid_a629e2665df2e3b5,@object ; @__hip_cuid_a629e2665df2e3b5
	.section	.bss,"aw",@nobits
	.globl	__hip_cuid_a629e2665df2e3b5
__hip_cuid_a629e2665df2e3b5:
	.byte	0                               ; 0x0
	.size	__hip_cuid_a629e2665df2e3b5, 1

	.ident	"AMD clang version 19.0.0git (https://github.com/RadeonOpenCompute/llvm-project roc-6.4.0 25133 c7fe45cf4b819c5991fe208aaa96edf142730f1d)"
	.section	".note.GNU-stack","",@progbits
	.addrsig
	.addrsig_sym __hip_cuid_a629e2665df2e3b5
	.amdgpu_metadata
---
amdhsa.kernels:
  - .agpr_count:     0
    .args:
      - .actual_access:  read_only
        .address_space:  global
        .offset:         0
        .size:           8
        .value_kind:     global_buffer
      - .actual_access:  read_only
        .address_space:  global
        .offset:         8
        .size:           8
        .value_kind:     global_buffer
      - .actual_access:  write_only
        .address_space:  global
        .offset:         16
        .size:           8
        .value_kind:     global_buffer
      - .actual_access:  read_only
        .address_space:  global
        .offset:         24
        .size:           8
        .value_kind:     global_buffer
      - .offset:         32
        .size:           4
        .value_kind:     by_value
      - .offset:         36
        .size:           4
        .value_kind:     by_value
      - .offset:         40
        .size:           4
        .value_kind:     by_value
    .group_segment_fixed_size: 17408
    .kernarg_segment_align: 8
    .kernarg_segment_size: 44
    .language:       OpenCL C
    .language_version:
      - 2
      - 0
    .max_flat_workgroup_size: 1024
    .name:           _Z20gemm_bf16_f32_mfma_oPK14__hip_bfloat16PKfPfS1_iii
    .private_segment_fixed_size: 0
    .sgpr_count:     39
    .sgpr_spill_count: 0
    .symbol:         _Z20gemm_bf16_f32_mfma_oPK14__hip_bfloat16PKfPfS1_iii.kd
    .uniform_work_group_size: 1
    .uses_dynamic_stack: false
    .vgpr_count:     56
    .vgpr_spill_count: 0
    .wavefront_size: 64
amdhsa.target:   amdgcn-amd-amdhsa--gfx90a
amdhsa.version:
  - 1
  - 2
...

	.end_amdgpu_metadata
